;; amdgpu-corpus repo=ROCm/rocFFT kind=compiled arch=gfx950 opt=O3
	.text
	.amdgcn_target "amdgcn-amd-amdhsa--gfx950"
	.amdhsa_code_object_version 6
	.protected	fft_rtc_back_len1456_factors_13_4_7_2_2_wgs_182_tpt_182_halfLds_half_op_CI_CI_unitstride_sbrr_C2R_dirReg ; -- Begin function fft_rtc_back_len1456_factors_13_4_7_2_2_wgs_182_tpt_182_halfLds_half_op_CI_CI_unitstride_sbrr_C2R_dirReg
	.globl	fft_rtc_back_len1456_factors_13_4_7_2_2_wgs_182_tpt_182_halfLds_half_op_CI_CI_unitstride_sbrr_C2R_dirReg
	.p2align	8
	.type	fft_rtc_back_len1456_factors_13_4_7_2_2_wgs_182_tpt_182_halfLds_half_op_CI_CI_unitstride_sbrr_C2R_dirReg,@function
fft_rtc_back_len1456_factors_13_4_7_2_2_wgs_182_tpt_182_halfLds_half_op_CI_CI_unitstride_sbrr_C2R_dirReg: ; @fft_rtc_back_len1456_factors_13_4_7_2_2_wgs_182_tpt_182_halfLds_half_op_CI_CI_unitstride_sbrr_C2R_dirReg
; %bb.0:
	s_load_dwordx4 s[4:7], s[0:1], 0x58
	s_load_dwordx4 s[8:11], s[0:1], 0x0
	;; [unrolled: 1-line block ×3, first 2 shown]
	v_mul_u32_u24_e32 v1, 0x169, v0
	v_add_u32_sdwa v8, s2, v1 dst_sel:DWORD dst_unused:UNUSED_PAD src0_sel:DWORD src1_sel:WORD_1
	v_mov_b32_e32 v6, 0
	s_waitcnt lgkmcnt(0)
	v_cmp_lt_u64_e64 s[2:3], s[10:11], 2
	v_mov_b32_e32 v9, v6
	s_and_b64 vcc, exec, s[2:3]
	v_mov_b64_e32 v[10:11], 0
	s_cbranch_vccnz .LBB0_8
; %bb.1:
	s_load_dwordx2 s[2:3], s[0:1], 0x10
	s_add_u32 s16, s14, 8
	s_addc_u32 s17, s15, 0
	s_add_u32 s18, s12, 8
	s_addc_u32 s19, s13, 0
	s_waitcnt lgkmcnt(0)
	s_add_u32 s20, s2, 8
	v_mov_b64_e32 v[10:11], 0
	s_addc_u32 s21, s3, 0
	s_mov_b64 s[22:23], 1
	v_mov_b64_e32 v[2:3], v[10:11]
.LBB0_2:                                ; =>This Inner Loop Header: Depth=1
	s_load_dwordx2 s[24:25], s[20:21], 0x0
                                        ; implicit-def: $vgpr4_vgpr5
	s_waitcnt lgkmcnt(0)
	v_or_b32_e32 v7, s25, v9
	v_cmp_ne_u64_e32 vcc, 0, v[6:7]
	s_and_saveexec_b64 s[2:3], vcc
	s_xor_b64 s[26:27], exec, s[2:3]
	s_cbranch_execz .LBB0_4
; %bb.3:                                ;   in Loop: Header=BB0_2 Depth=1
	v_cvt_f32_u32_e32 v1, s24
	v_cvt_f32_u32_e32 v4, s25
	s_sub_u32 s2, 0, s24
	s_subb_u32 s3, 0, s25
	v_fmac_f32_e32 v1, 0x4f800000, v4
	v_rcp_f32_e32 v1, v1
	s_nop 0
	v_mul_f32_e32 v1, 0x5f7ffffc, v1
	v_mul_f32_e32 v4, 0x2f800000, v1
	v_trunc_f32_e32 v4, v4
	v_fmac_f32_e32 v1, 0xcf800000, v4
	v_cvt_u32_f32_e32 v7, v4
	v_cvt_u32_f32_e32 v1, v1
	v_mul_lo_u32 v4, s2, v7
	v_mul_hi_u32 v12, s2, v1
	v_mul_lo_u32 v5, s3, v1
	v_add_u32_e32 v12, v12, v4
	v_mul_lo_u32 v14, s2, v1
	v_add_u32_e32 v15, v12, v5
	v_mul_hi_u32 v4, v1, v14
	v_mul_hi_u32 v13, v1, v15
	v_mul_lo_u32 v12, v1, v15
	v_mov_b32_e32 v5, v6
	v_lshl_add_u64 v[4:5], v[4:5], 0, v[12:13]
	v_mul_hi_u32 v13, v7, v14
	v_mul_lo_u32 v14, v7, v14
	v_add_co_u32_e32 v4, vcc, v4, v14
	v_mul_hi_u32 v12, v7, v15
	s_nop 0
	v_addc_co_u32_e32 v4, vcc, v5, v13, vcc
	v_mov_b32_e32 v5, v6
	s_nop 0
	v_addc_co_u32_e32 v13, vcc, 0, v12, vcc
	v_mul_lo_u32 v12, v7, v15
	v_lshl_add_u64 v[4:5], v[4:5], 0, v[12:13]
	v_add_co_u32_e32 v1, vcc, v1, v4
	v_mul_lo_u32 v12, s2, v1
	s_nop 0
	v_addc_co_u32_e32 v7, vcc, v7, v5, vcc
	v_mul_lo_u32 v4, s2, v7
	v_mul_hi_u32 v5, s2, v1
	v_add_u32_e32 v4, v5, v4
	v_mul_lo_u32 v5, s3, v1
	v_add_u32_e32 v14, v4, v5
	v_mul_hi_u32 v16, v7, v12
	v_mul_lo_u32 v17, v7, v12
	v_mul_hi_u32 v5, v1, v14
	v_mul_lo_u32 v4, v1, v14
	v_mul_hi_u32 v12, v1, v12
	v_mov_b32_e32 v13, v6
	v_lshl_add_u64 v[4:5], v[12:13], 0, v[4:5]
	v_add_co_u32_e32 v4, vcc, v4, v17
	v_mul_hi_u32 v15, v7, v14
	s_nop 0
	v_addc_co_u32_e32 v4, vcc, v5, v16, vcc
	v_mul_lo_u32 v12, v7, v14
	s_nop 0
	v_addc_co_u32_e32 v13, vcc, 0, v15, vcc
	v_mov_b32_e32 v5, v6
	v_lshl_add_u64 v[4:5], v[4:5], 0, v[12:13]
	v_add_co_u32_e32 v1, vcc, v1, v4
	v_mul_hi_u32 v12, v8, v1
	s_nop 0
	v_addc_co_u32_e32 v7, vcc, v7, v5, vcc
	v_mad_u64_u32 v[4:5], s[2:3], v8, v7, 0
	v_mov_b32_e32 v13, v6
	v_lshl_add_u64 v[4:5], v[12:13], 0, v[4:5]
	v_mad_u64_u32 v[14:15], s[2:3], v9, v1, 0
	v_add_co_u32_e32 v1, vcc, v4, v14
	v_mad_u64_u32 v[12:13], s[2:3], v9, v7, 0
	s_nop 0
	v_addc_co_u32_e32 v4, vcc, v5, v15, vcc
	v_mov_b32_e32 v5, v6
	s_nop 0
	v_addc_co_u32_e32 v13, vcc, 0, v13, vcc
	v_lshl_add_u64 v[4:5], v[4:5], 0, v[12:13]
	v_mul_lo_u32 v1, s25, v4
	v_mul_lo_u32 v7, s24, v5
	v_mad_u64_u32 v[12:13], s[2:3], s24, v4, 0
	v_add3_u32 v1, v13, v7, v1
	v_sub_u32_e32 v7, v9, v1
	v_mov_b32_e32 v13, s25
	v_sub_co_u32_e32 v16, vcc, v8, v12
	v_lshl_add_u64 v[14:15], v[4:5], 0, 1
	s_nop 0
	v_subb_co_u32_e64 v7, s[2:3], v7, v13, vcc
	v_subrev_co_u32_e64 v12, s[2:3], s24, v16
	v_subb_co_u32_e32 v1, vcc, v9, v1, vcc
	s_nop 0
	v_subbrev_co_u32_e64 v7, s[2:3], 0, v7, s[2:3]
	v_cmp_le_u32_e64 s[2:3], s25, v7
	v_cmp_le_u32_e32 vcc, s25, v1
	s_nop 0
	v_cndmask_b32_e64 v13, 0, -1, s[2:3]
	v_cmp_le_u32_e64 s[2:3], s24, v12
	s_nop 1
	v_cndmask_b32_e64 v12, 0, -1, s[2:3]
	v_cmp_eq_u32_e64 s[2:3], s25, v7
	s_nop 1
	v_cndmask_b32_e64 v7, v13, v12, s[2:3]
	v_lshl_add_u64 v[12:13], v[4:5], 0, 2
	v_cmp_ne_u32_e64 s[2:3], 0, v7
	s_nop 1
	v_cndmask_b32_e64 v7, v15, v13, s[2:3]
	v_cndmask_b32_e64 v13, 0, -1, vcc
	v_cmp_le_u32_e32 vcc, s24, v16
	s_nop 1
	v_cndmask_b32_e64 v15, 0, -1, vcc
	v_cmp_eq_u32_e32 vcc, s25, v1
	s_nop 1
	v_cndmask_b32_e32 v1, v13, v15, vcc
	v_cmp_ne_u32_e32 vcc, 0, v1
	v_cndmask_b32_e64 v1, v14, v12, s[2:3]
	s_nop 0
	v_cndmask_b32_e32 v5, v5, v7, vcc
	v_cndmask_b32_e32 v4, v4, v1, vcc
.LBB0_4:                                ;   in Loop: Header=BB0_2 Depth=1
	s_andn2_saveexec_b64 s[2:3], s[26:27]
	s_cbranch_execz .LBB0_6
; %bb.5:                                ;   in Loop: Header=BB0_2 Depth=1
	v_cvt_f32_u32_e32 v1, s24
	s_sub_i32 s26, 0, s24
	v_rcp_iflag_f32_e32 v1, v1
	s_nop 0
	v_mul_f32_e32 v1, 0x4f7ffffe, v1
	v_cvt_u32_f32_e32 v1, v1
	v_mul_lo_u32 v4, s26, v1
	v_mul_hi_u32 v4, v1, v4
	v_add_u32_e32 v1, v1, v4
	v_mul_hi_u32 v1, v8, v1
	v_mul_lo_u32 v4, v1, s24
	v_sub_u32_e32 v4, v8, v4
	v_add_u32_e32 v5, 1, v1
	v_subrev_u32_e32 v7, s24, v4
	v_cmp_le_u32_e32 vcc, s24, v4
	s_nop 1
	v_cndmask_b32_e32 v4, v4, v7, vcc
	v_cndmask_b32_e32 v1, v1, v5, vcc
	v_add_u32_e32 v5, 1, v1
	v_cmp_le_u32_e32 vcc, s24, v4
	s_nop 1
	v_cndmask_b32_e32 v4, v1, v5, vcc
	v_mov_b32_e32 v5, v6
.LBB0_6:                                ;   in Loop: Header=BB0_2 Depth=1
	s_or_b64 exec, exec, s[2:3]
	v_mad_u64_u32 v[12:13], s[2:3], v4, s24, 0
	s_load_dwordx2 s[2:3], s[18:19], 0x0
	v_mul_lo_u32 v1, v5, s24
	v_mul_lo_u32 v7, v4, s25
	s_load_dwordx2 s[24:25], s[16:17], 0x0
	s_add_u32 s22, s22, 1
	v_add3_u32 v1, v13, v7, v1
	v_sub_co_u32_e32 v7, vcc, v8, v12
	s_addc_u32 s23, s23, 0
	s_nop 0
	v_subb_co_u32_e32 v1, vcc, v9, v1, vcc
	s_add_u32 s16, s16, 8
	s_waitcnt lgkmcnt(0)
	v_mul_lo_u32 v8, s2, v1
	v_mul_lo_u32 v9, s3, v7
	v_mad_u64_u32 v[10:11], s[2:3], s2, v7, v[10:11]
	s_addc_u32 s17, s17, 0
	v_add3_u32 v11, v9, v11, v8
	v_mul_lo_u32 v1, s24, v1
	v_mul_lo_u32 v8, s25, v7
	v_mad_u64_u32 v[2:3], s[2:3], s24, v7, v[2:3]
	s_add_u32 s18, s18, 8
	v_add3_u32 v3, v8, v3, v1
	s_addc_u32 s19, s19, 0
	v_mov_b64_e32 v[8:9], s[10:11]
	s_add_u32 s20, s20, 8
	v_cmp_ge_u64_e32 vcc, s[22:23], v[8:9]
	s_addc_u32 s21, s21, 0
	s_cbranch_vccnz .LBB0_9
; %bb.7:                                ;   in Loop: Header=BB0_2 Depth=1
	v_mov_b64_e32 v[8:9], v[4:5]
	s_branch .LBB0_2
.LBB0_8:
	v_mov_b64_e32 v[2:3], v[10:11]
	v_mov_b64_e32 v[4:5], v[8:9]
.LBB0_9:
	s_load_dwordx2 s[18:19], s[0:1], 0x28
	s_lshl_b64 s[16:17], s[10:11], 3
	s_add_u32 s2, s14, s16
	s_addc_u32 s3, s15, s17
                                        ; implicit-def: $vgpr6
                                        ; implicit-def: $vgpr8_vgpr9
	s_waitcnt lgkmcnt(0)
	v_cmp_gt_u64_e64 s[0:1], s[18:19], v[4:5]
	v_cmp_le_u64_e32 vcc, s[18:19], v[4:5]
	s_and_saveexec_b64 s[10:11], vcc
	s_xor_b64 s[10:11], exec, s[10:11]
; %bb.10:
	s_mov_b32 s14, 0x1681682
	v_mul_hi_u32 v1, v0, s14
	v_mul_u32_u24_e32 v1, 0xb6, v1
	v_sub_u32_e32 v6, v0, v1
	v_mov_b32_e32 v7, 0
	v_mov_b64_e32 v[8:9], v[6:7]
                                        ; implicit-def: $vgpr0
                                        ; implicit-def: $vgpr10_vgpr11
; %bb.11:
	s_or_saveexec_b64 s[10:11], s[10:11]
	s_load_dwordx2 s[2:3], s[2:3], 0x0
	s_xor_b64 exec, exec, s[10:11]
	s_cbranch_execz .LBB0_15
; %bb.12:
	s_add_u32 s12, s12, s16
	s_addc_u32 s13, s13, s17
	s_load_dwordx2 s[12:13], s[12:13], 0x0
	s_mov_b32 s14, 0x1681682
	v_mov_b32_e32 v7, 0
	s_waitcnt lgkmcnt(0)
	v_mul_lo_u32 v1, s13, v4
	v_mul_lo_u32 v6, s12, v5
	v_mad_u64_u32 v[8:9], s[12:13], s12, v4, 0
	v_add3_u32 v9, v9, v6, v1
	v_mul_hi_u32 v1, v0, s14
	v_mul_u32_u24_e32 v1, 0xb6, v1
	v_sub_u32_e32 v6, v0, v1
	v_lshl_add_u64 v[0:1], v[8:9], 2, s[4:5]
	v_lshl_add_u64 v[0:1], v[10:11], 2, v[0:1]
	v_lshlrev_b32_e32 v8, 2, v6
	v_mov_b32_e32 v9, v7
	v_lshl_add_u64 v[10:11], v[0:1], 0, v[8:9]
	v_add_co_u32_e32 v12, vcc, 0x1000, v10
	s_movk_i32 s4, 0xb5
	s_nop 0
	v_addc_co_u32_e32 v13, vcc, 0, v11, vcc
	global_load_dword v9, v[10:11], off
	global_load_dword v14, v[10:11], off offset:728
	global_load_dword v15, v[10:11], off offset:1456
	;; [unrolled: 1-line block ×7, first 2 shown]
	v_add_u32_e32 v8, 0, v8
	v_cmp_eq_u32_e32 vcc, s4, v6
	v_add_u32_e32 v10, 0x500, v8
	v_add_u32_e32 v11, 0xb00, v8
	;; [unrolled: 1-line block ×3, first 2 shown]
	s_waitcnt vmcnt(6)
	ds_write2_b32 v8, v9, v14 offset1:182
	s_waitcnt vmcnt(4)
	ds_write2_b32 v10, v15, v16 offset0:44 offset1:226
	s_waitcnt vmcnt(2)
	ds_write2_b32 v11, v17, v18 offset0:24 offset1:206
	;; [unrolled: 2-line block ×3, first 2 shown]
	v_mov_b64_e32 v[8:9], v[6:7]
	s_and_saveexec_b64 s[4:5], vcc
	s_cbranch_execz .LBB0_14
; %bb.13:
	v_add_co_u32_e32 v0, vcc, 0x1000, v0
	v_mov_b32_e32 v6, 0xb5
	s_nop 0
	v_addc_co_u32_e32 v1, vcc, 0, v1, vcc
	global_load_dword v0, v[0:1], off offset:1728
	v_mov_b64_e32 v[8:9], 0xb5
	s_waitcnt vmcnt(0)
	ds_write_b32 v7, v0 offset:5824
.LBB0_14:
	s_or_b64 exec, exec, s[4:5]
.LBB0_15:
	s_or_b64 exec, exec, s[10:11]
	v_lshlrev_b32_e32 v0, 2, v6
	v_add_u32_e32 v26, 0, v0
	s_waitcnt lgkmcnt(0)
	s_barrier
	v_sub_u32_e32 v0, 0, v0
	ds_read_u16 v7, v26
	ds_read_u16 v11, v0 offset:5824
	s_add_u32 s4, s8, 0x168c
	s_addc_u32 s5, s9, 0
	v_cmp_ne_u32_e32 vcc, 0, v6
	s_waitcnt lgkmcnt(0)
	v_add_f16_e32 v1, v11, v7
	v_sub_f16_e32 v10, v7, v11
	s_and_saveexec_b64 s[10:11], vcc
	s_xor_b64 s[10:11], exec, s[10:11]
	s_cbranch_execz .LBB0_17
; %bb.16:
	v_lshl_add_u64 v[12:13], v[8:9], 2, s[4:5]
	global_load_dword v12, v[12:13], off
	ds_read_u16 v1, v0 offset:5826
	ds_read_u16 v10, v26 offset:2
	v_add_f16_e32 v13, v11, v7
	v_sub_f16_e32 v7, v7, v11
	s_waitcnt lgkmcnt(0)
	v_add_f16_e32 v11, v1, v10
	v_sub_f16_e32 v1, v10, v1
	s_waitcnt vmcnt(0)
	v_lshrrev_b32_e32 v10, 16, v12
	v_fma_f16 v14, v7, v10, v13
	v_fma_f16 v15, v11, v10, v1
	v_fma_f16 v13, -v7, v10, v13
	v_fma_f16 v16, v11, v10, -v1
	v_fma_f16 v1, -v12, v11, v14
	v_fma_f16 v10, v7, v12, v15
	v_fma_f16 v11, v12, v11, v13
	;; [unrolled: 1-line block ×3, first 2 shown]
	v_pack_b32_f16 v7, v11, v7
	ds_write_b32 v0, v7 offset:5824
.LBB0_17:
	s_andn2_saveexec_b64 s[10:11], s[10:11]
	s_cbranch_execz .LBB0_19
; %bb.18:
	v_mov_b32_e32 v7, 0
	ds_read_b32 v11, v7 offset:2912
	s_mov_b32 s12, 0xc0004000
	s_waitcnt lgkmcnt(0)
	v_pk_mul_f16 v11, v11, s12
	ds_write_b32 v7, v11 offset:2912
.LBB0_19:
	s_or_b64 exec, exec, s[10:11]
	v_mov_b32_e32 v7, 0
	v_lshl_add_u64 v[12:13], v[6:7], 2, s[4:5]
	global_load_dword v11, v[12:13], off offset:728
	global_load_dword v14, v[12:13], off offset:1456
	;; [unrolled: 1-line block ×3, first 2 shown]
	s_mov_b32 s10, 0x5040100
	v_perm_b32 v1, v10, v1, s10
	ds_write_b32 v26, v1
	ds_read_b32 v1, v26 offset:728
	ds_read_b32 v10, v0 offset:5096
	v_add_u32_e32 v18, 0xa00, v26
	v_add_u32_e32 v19, 0xc00, v26
	;; [unrolled: 1-line block ×4, first 2 shown]
	s_waitcnt lgkmcnt(0)
	v_add_f16_e32 v16, v1, v10
	v_add_f16_sdwa v17, v10, v1 dst_sel:DWORD dst_unused:UNUSED_PAD src0_sel:WORD_1 src1_sel:WORD_1
	v_sub_f16_e32 v20, v1, v10
	v_sub_f16_sdwa v1, v1, v10 dst_sel:DWORD dst_unused:UNUSED_PAD src0_sel:WORD_1 src1_sel:WORD_1
	v_add_u32_e32 v12, 0x1000, v26
	s_mov_b32 s5, 0xb770
	s_movk_i32 s16, 0x3b15
	s_mov_b32 s4, 0xba95
	s_mov_b32 s23, 0xbbf1
	s_movk_i32 s18, 0x388b
	s_movk_i32 s17, 0x2fb7
	s_mov_b32 s11, 0xbb7b
	s_mov_b32 s13, 0xb3a8
	;; [unrolled: 1-line block ×4, first 2 shown]
	s_movk_i32 s20, 0x394e
	s_mov_b32 s21, 0xb9fd
	s_movk_i32 s24, 0x3b7b
	s_movk_i32 s15, 0x3770
	s_mov_b32 s12, 0xb94e
	s_movk_i32 s14, 0x3bf1
	s_movk_i32 s25, 0x33a8
	s_mov_b32 s26, 0x394ebbf1
	s_mov_b32 s27, 0x3bf133a8
	;; [unrolled: 1-line block ×3, first 2 shown]
	s_waitcnt vmcnt(2)
	v_lshrrev_b32_e32 v10, 16, v11
	v_fma_f16 v21, v20, v10, v16
	v_fma_f16 v22, v17, v10, v1
	v_fma_f16 v16, -v20, v10, v16
	v_fma_f16 v1, v17, v10, -v1
	v_fma_f16 v10, -v11, v17, v21
	v_fma_f16 v21, v20, v11, v22
	v_fma_f16 v16, v11, v17, v16
	;; [unrolled: 1-line block ×3, first 2 shown]
	v_pack_b32_f16 v10, v10, v21
	v_pack_b32_f16 v1, v16, v1
	ds_write_b32 v26, v10 offset:728
	ds_write_b32 v0, v1 offset:5096
	ds_read_b32 v1, v26 offset:1456
	ds_read_b32 v10, v0 offset:4368
	s_waitcnt vmcnt(1)
	v_lshrrev_b32_e32 v11, 16, v14
	s_waitcnt lgkmcnt(0)
	v_add_f16_e32 v16, v1, v10
	v_add_f16_sdwa v17, v10, v1 dst_sel:DWORD dst_unused:UNUSED_PAD src0_sel:WORD_1 src1_sel:WORD_1
	v_sub_f16_e32 v20, v1, v10
	v_sub_f16_sdwa v1, v1, v10 dst_sel:DWORD dst_unused:UNUSED_PAD src0_sel:WORD_1 src1_sel:WORD_1
	v_fma_f16 v10, v20, v11, v16
	v_fma_f16 v21, v17, v11, v1
	v_fma_f16 v16, -v20, v11, v16
	v_fma_f16 v1, v17, v11, -v1
	v_fma_f16 v10, -v14, v17, v10
	v_fma_f16 v11, v20, v14, v21
	v_fma_f16 v16, v14, v17, v16
	;; [unrolled: 1-line block ×3, first 2 shown]
	v_pack_b32_f16 v10, v10, v11
	v_pack_b32_f16 v1, v16, v1
	ds_write_b32 v26, v10 offset:1456
	ds_write_b32 v0, v1 offset:4368
	ds_read_b32 v1, v26 offset:2184
	ds_read_b32 v10, v0 offset:3640
	s_waitcnt vmcnt(0)
	v_lshrrev_b32_e32 v11, 16, v15
	s_waitcnt lgkmcnt(0)
	v_add_f16_e32 v14, v1, v10
	v_add_f16_sdwa v16, v10, v1 dst_sel:DWORD dst_unused:UNUSED_PAD src0_sel:WORD_1 src1_sel:WORD_1
	v_sub_f16_e32 v17, v1, v10
	v_sub_f16_sdwa v1, v1, v10 dst_sel:DWORD dst_unused:UNUSED_PAD src0_sel:WORD_1 src1_sel:WORD_1
	v_fma_f16 v10, v17, v11, v14
	v_fma_f16 v20, v16, v11, v1
	v_fma_f16 v14, -v17, v11, v14
	v_fma_f16 v1, v16, v11, -v1
	v_fma_f16 v10, -v15, v16, v10
	v_fma_f16 v11, v17, v15, v20
	v_fma_f16 v14, v15, v16, v14
	;; [unrolled: 1-line block ×3, first 2 shown]
	v_pack_b32_f16 v10, v10, v11
	v_pack_b32_f16 v1, v14, v1
	ds_write_b32 v26, v10 offset:2184
	ds_write_b32 v0, v1 offset:3640
	s_waitcnt lgkmcnt(0)
	s_barrier
	s_barrier
	ds_read2_b32 v[14:15], v26 offset1:112
	ds_read2_b32 v[20:21], v13 offset0:96 offset1:208
	ds_read_b32 v34, v26 offset:5376
	ds_read2_b32 v[22:23], v29 offset0:64 offset1:176
	ds_read2_b32 v[16:17], v12 offset0:96 offset1:208
	;; [unrolled: 1-line block ×4, first 2 shown]
	s_waitcnt lgkmcnt(4)
	v_pk_add_f16 v32, v15, v34 neg_lo:[0,1] neg_hi:[0,1]
	v_pk_add_f16 v67, v34, v15
	s_waitcnt lgkmcnt(2)
	v_pk_add_f16 v33, v20, v17 neg_lo:[0,1] neg_hi:[0,1]
	v_mul_f16_sdwa v36, v32, s5 dst_sel:DWORD dst_unused:UNUSED_PAD src0_sel:WORD_1 src1_sel:DWORD
	v_pk_add_f16 v66, v17, v20
	v_mul_f16_sdwa v42, v32, s23 dst_sel:DWORD dst_unused:UNUSED_PAD src0_sel:WORD_1 src1_sel:DWORD
	v_mul_f16_sdwa v37, v33, s4 dst_sel:DWORD dst_unused:UNUSED_PAD src0_sel:WORD_1 src1_sel:DWORD
	v_fma_f16 v0, v67, s16, -v36
	v_mul_f16_sdwa v48, v32, s11 dst_sel:DWORD dst_unused:UNUSED_PAD src0_sel:WORD_1 src1_sel:DWORD
	v_fma_f16 v10, v67, s17, -v42
	v_fma_f16 v13, v66, s18, -v37
	v_add_f16_e32 v0, v14, v0
	v_mul_f16_sdwa v44, v33, s13 dst_sel:DWORD dst_unused:UNUSED_PAD src0_sel:WORD_1 src1_sel:DWORD
	v_mul_f16_sdwa v38, v32, s4 dst_sel:DWORD dst_unused:UNUSED_PAD src0_sel:WORD_1 src1_sel:DWORD
	v_fma_f16 v11, v67, s19, -v48
	v_add_f16_e32 v10, v14, v10
	v_add_f16_e32 v0, v13, v0
	v_fma_f16 v13, v66, s22, -v44
	v_mul_f16_sdwa v52, v33, s20 dst_sel:DWORD dst_unused:UNUSED_PAD src0_sel:WORD_1 src1_sel:DWORD
	v_pk_add_f16 v35, v21, v16 neg_lo:[0,1] neg_hi:[0,1]
	v_mul_f16_sdwa v40, v33, s11 dst_sel:DWORD dst_unused:UNUSED_PAD src0_sel:WORD_1 src1_sel:DWORD
	v_fma_f16 v1, v67, s18, -v38
	v_add_f16_e32 v11, v14, v11
	v_add_f16_e32 v10, v13, v10
	v_fma_f16 v13, v66, s21, -v52
	v_pk_add_f16 v72, v16, v21
	v_mul_f16_sdwa v41, v35, s23 dst_sel:DWORD dst_unused:UNUSED_PAD src0_sel:WORD_1 src1_sel:DWORD
	v_fma_f16 v27, v66, s19, -v40
	v_add_f16_e32 v1, v14, v1
	v_add_f16_e32 v11, v13, v11
	v_fma_f16 v13, v72, s17, -v41
	v_mul_f16_sdwa v46, v35, s13 dst_sel:DWORD dst_unused:UNUSED_PAD src0_sel:WORD_1 src1_sel:DWORD
	v_add_f16_e32 v1, v27, v1
	v_add_f16_e32 v0, v13, v0
	v_fma_f16 v13, v72, s22, -v46
	v_mul_f16_sdwa v49, v35, s24 dst_sel:DWORD dst_unused:UNUSED_PAD src0_sel:WORD_1 src1_sel:DWORD
	v_add_f16_e32 v1, v13, v1
	v_fma_f16 v13, v72, s19, -v49
	v_mul_f16_sdwa v57, v35, s15 dst_sel:DWORD dst_unused:UNUSED_PAD src0_sel:WORD_1 src1_sel:DWORD
	s_waitcnt lgkmcnt(0)
	v_pk_add_f16 v39, v22, v19 neg_lo:[0,1] neg_hi:[0,1]
	v_add_f16_e32 v10, v13, v10
	v_fma_f16 v13, v72, s16, -v57
	v_pk_add_f16 v69, v19, v22
	v_mul_f16_sdwa v45, v39, s11 dst_sel:DWORD dst_unused:UNUSED_PAD src0_sel:WORD_1 src1_sel:DWORD
	v_add_f16_e32 v11, v13, v11
	v_fma_f16 v13, v69, s19, -v45
	v_mul_f16_sdwa v51, v39, s20 dst_sel:DWORD dst_unused:UNUSED_PAD src0_sel:WORD_1 src1_sel:DWORD
	v_add_f16_e32 v0, v13, v0
	v_fma_f16 v13, v69, s21, -v51
	;; [unrolled: 3-line block ×3, first 2 shown]
	v_mul_f16_sdwa v60, v39, s23 dst_sel:DWORD dst_unused:UNUSED_PAD src0_sel:WORD_1 src1_sel:DWORD
	v_pk_add_f16 v43, v23, v18 neg_lo:[0,1] neg_hi:[0,1]
	v_add_f16_e32 v10, v13, v10
	v_fma_f16 v13, v69, s17, -v60
	v_pk_add_f16 v73, v18, v23
	v_mul_f16_sdwa v50, v43, s12 dst_sel:DWORD dst_unused:UNUSED_PAD src0_sel:WORD_1 src1_sel:DWORD
	v_add_f16_e32 v11, v13, v11
	v_fma_f16 v13, v73, s21, -v50
	v_mul_f16_sdwa v56, v43, s14 dst_sel:DWORD dst_unused:UNUSED_PAD src0_sel:WORD_1 src1_sel:DWORD
	v_add_f16_e32 v0, v13, v0
	v_fma_f16 v13, v73, s17, -v56
	;; [unrolled: 3-line block ×3, first 2 shown]
	v_mul_f16_sdwa v64, v43, s25 dst_sel:DWORD dst_unused:UNUSED_PAD src0_sel:WORD_1 src1_sel:DWORD
	v_pk_add_f16 v74, v25, v24
	v_pk_add_f16 v47, v24, v25 neg_lo:[0,1] neg_hi:[0,1]
	v_add_f16_e32 v10, v1, v10
	v_fma_f16 v1, v73, s22, -v64
	v_pk_mul_f16 v53, v74, s22 op_sel_hi:[1,0]
	v_pk_mul_f16 v54, v47, s13 op_sel_hi:[1,0]
	v_add_f16_e32 v27, v1, v11
	v_sub_f16_sdwa v1, v53, v54 dst_sel:DWORD dst_unused:UNUSED_PAD src0_sel:DWORD src1_sel:WORD_1
	v_mul_f16_sdwa v59, v47, s15 dst_sel:DWORD dst_unused:UNUSED_PAD src0_sel:WORD_1 src1_sel:DWORD
	v_mul_f16_sdwa v63, v47, s12 dst_sel:DWORD dst_unused:UNUSED_PAD src0_sel:WORD_1 src1_sel:DWORD
	s_movk_i32 s20, 0x3a95
	v_add_f16_e32 v1, v1, v0
	v_fma_f16 v0, v74, s16, -v59
	v_fma_f16 v11, v74, s21, -v63
	v_mul_f16_sdwa v71, v47, s20 dst_sel:DWORD dst_unused:UNUSED_PAD src0_sel:WORD_1 src1_sel:DWORD
	v_mul_f16_sdwa v61, v67, s16 dst_sel:DWORD dst_unused:UNUSED_PAD src0_sel:WORD_1 src1_sel:DWORD
	v_add_f16_e32 v0, v0, v13
	v_add_f16_e32 v11, v11, v10
	v_fma_f16 v10, v74, s18, -v71
	v_fma_f16 v13, v32, s5, v61
	v_mul_f16_sdwa v62, v66, s18 dst_sel:DWORD dst_unused:UNUSED_PAD src0_sel:WORD_1 src1_sel:DWORD
	v_add_f16_e32 v10, v10, v27
	v_add_f16_sdwa v13, v14, v13 dst_sel:DWORD dst_unused:UNUSED_PAD src0_sel:WORD_1 src1_sel:DWORD
	v_fma_f16 v27, v33, s4, v62
	v_mul_f16_sdwa v75, v67, s17 dst_sel:DWORD dst_unused:UNUSED_PAD src0_sel:WORD_1 src1_sel:DWORD
	v_add_f16_e32 v13, v27, v13
	v_fma_f16 v27, v32, s23, v75
	v_mul_f16_sdwa v76, v66, s22 dst_sel:DWORD dst_unused:UNUSED_PAD src0_sel:WORD_1 src1_sel:DWORD
	v_add_f16_sdwa v27, v14, v27 dst_sel:DWORD dst_unused:UNUSED_PAD src0_sel:WORD_1 src1_sel:DWORD
	v_fma_f16 v28, v33, s13, v76
	v_mul_f16_sdwa v82, v32, s12 dst_sel:DWORD dst_unused:UNUSED_PAD src0_sel:WORD_1 src1_sel:DWORD
	v_add_f16_e32 v27, v28, v27
	v_fma_f16 v28, v67, s21, -v82
	v_mul_f16_sdwa v81, v33, s14 dst_sel:DWORD dst_unused:UNUSED_PAD src0_sel:WORD_1 src1_sel:DWORD
	v_add_f16_e32 v28, v14, v28
	v_fma_f16 v30, v66, s17, -v81
	v_mul_f16_sdwa v93, v67, s21 dst_sel:DWORD dst_unused:UNUSED_PAD src0_sel:WORD_1 src1_sel:DWORD
	v_add_f16_e32 v28, v30, v28
	v_fma_f16 v30, v32, s12, v93
	v_mul_f16_sdwa v92, v66, s17 dst_sel:DWORD dst_unused:UNUSED_PAD src0_sel:WORD_1 src1_sel:DWORD
	v_add_f16_sdwa v30, v14, v30 dst_sel:DWORD dst_unused:UNUSED_PAD src0_sel:WORD_1 src1_sel:DWORD
	v_fma_f16 v31, v33, s14, v92
	v_mul_f16_sdwa v65, v72, s17 dst_sel:DWORD dst_unused:UNUSED_PAD src0_sel:WORD_1 src1_sel:DWORD
	v_add_f16_e32 v30, v31, v30
	v_fma_f16 v31, v35, s23, v65
	v_mul_f16_sdwa v77, v72, s19 dst_sel:DWORD dst_unused:UNUSED_PAD src0_sel:WORD_1 src1_sel:DWORD
	v_add_f16_e32 v13, v31, v13
	v_fma_f16 v31, v35, s24, v77
	v_mul_f16_sdwa v83, v35, s4 dst_sel:DWORD dst_unused:UNUSED_PAD src0_sel:WORD_1 src1_sel:DWORD
	v_add_f16_e32 v27, v31, v27
	v_fma_f16 v31, v72, s18, -v83
	v_mul_f16_sdwa v94, v72, s18 dst_sel:DWORD dst_unused:UNUSED_PAD src0_sel:WORD_1 src1_sel:DWORD
	v_add_f16_e32 v28, v31, v28
	v_fma_f16 v31, v35, s4, v94
	v_mul_f16_sdwa v68, v69, s19 dst_sel:DWORD dst_unused:UNUSED_PAD src0_sel:WORD_1 src1_sel:DWORD
	v_add_f16_e32 v30, v31, v30
	v_fma_f16 v31, v39, s11, v68
	v_mul_f16_sdwa v78, v69, s16 dst_sel:DWORD dst_unused:UNUSED_PAD src0_sel:WORD_1 src1_sel:DWORD
	v_add_f16_e32 v13, v31, v13
	v_fma_f16 v31, v39, s15, v78
	v_mul_f16_sdwa v84, v39, s25 dst_sel:DWORD dst_unused:UNUSED_PAD src0_sel:WORD_1 src1_sel:DWORD
	v_add_f16_e32 v27, v31, v27
	v_fma_f16 v31, v69, s22, -v84
	v_mul_f16_sdwa v95, v69, s22 dst_sel:DWORD dst_unused:UNUSED_PAD src0_sel:WORD_1 src1_sel:DWORD
	v_add_f16_e32 v28, v31, v28
	;; [unrolled: 12-line block ×3, first 2 shown]
	v_fma_f16 v27, v43, s15, v96
	v_add_f16_e32 v97, v27, v30
	v_add_f16_sdwa v27, v54, v53 dst_sel:DWORD dst_unused:UNUSED_PAD src0_sel:DWORD src1_sel:WORD_1
	v_mul_f16_sdwa v80, v74, s21 dst_sel:DWORD dst_unused:UNUSED_PAD src0_sel:WORD_1 src1_sel:DWORD
	s_mov_b32 s4, 0x388bb5ac
	v_add_f16_e32 v27, v27, v13
	v_fma_f16 v13, v47, s12, v80
	s_mov_b32 s23, 0xba95bb7b
	v_pk_mul_f16 v86, v67, s4 op_sel:[1,0]
	s_mov_b32 s4, 0xb5acb9fd
	v_add_f16_e32 v28, v13, v31
	v_pk_fma_f16 v13, v32, s23, v86 op_sel_hi:[0,1,1]
	s_mov_b32 s24, 0xbb7b394e
	v_pk_mul_f16 v87, v66, s4 op_sel:[1,0]
	s_mov_b32 s4, 0xbbc43b15
	v_pk_add_f16 v13, v14, v13 op_sel:[1,0]
	v_pk_fma_f16 v30, v33, s24, v87 op_sel_hi:[0,1,1]
	s_mov_b32 s25, 0xb3a83770
	v_pk_mul_f16 v88, v72, s4 op_sel:[1,0]
	s_mov_b32 s4, 0xb9fd2fb7
	v_pk_add_f16 v13, v30, v13
	v_pk_fma_f16 v30, v35, s25, v88 op_sel_hi:[0,1,1]
	v_pk_mul_f16 v89, v69, s4 op_sel:[1,0]
	s_mov_b32 s4, 0x2fb7bbc4
	v_pk_add_f16 v13, v30, v13
	v_pk_fma_f16 v30, v39, s26, v89 op_sel_hi:[0,1,1]
	;; [unrolled: 4-line block ×3, first 2 shown]
	v_pk_mul_f16 v91, v74, s4 op_sel:[1,0]
	v_pk_add_f16 v13, v30, v13
	v_pk_fma_f16 v30, v47, s28, v91 op_sel_hi:[0,1,1]
	v_mul_f16_sdwa v98, v74, s19 dst_sel:DWORD dst_unused:UNUSED_PAD src0_sel:WORD_1 src1_sel:DWORD
	v_pk_add_f16 v30, v30, v13
	v_fma_f16 v13, v47, s11, v98
	v_add_f16_e32 v31, v13, v97
	v_mul_f16_sdwa v97, v47, s11 dst_sel:DWORD dst_unused:UNUSED_PAD src0_sel:WORD_1 src1_sel:DWORD
	v_fma_f16 v13, v74, s19, -v97
	s_movk_i32 s4, 0x70
	v_add_f16_e32 v13, v13, v99
	v_cmp_gt_u32_e32 vcc, s4, v6
	s_barrier
	s_and_saveexec_b64 s[4:5], vcc
	s_cbranch_execz .LBB0_21
; %bb.20:
	v_mul_f16_e32 v99, 0x3b15, v67
	v_mul_f16_e32 v101, 0x388b, v67
	;; [unrolled: 1-line block ×5, first 2 shown]
	v_pk_mul_f16 v67, v67, s22 op_sel_hi:[1,0]
	v_mul_f16_e32 v107, 0x388b, v66
	v_mul_f16_e32 v109, 0xb5ac, v66
	;; [unrolled: 1-line block ×5, first 2 shown]
	v_pk_fma_f16 v118, v32, s13, v67 op_sel:[0,0,1] op_sel_hi:[1,0,0]
	v_pk_mul_f16 v66, v66, s16 op_sel_hi:[1,0]
	v_mul_f16_e32 v106, 0xb94e, v32
	v_pk_add_f16 v118, v14, v118 op_sel:[1,0] op_sel_hi:[0,1]
	v_pk_fma_f16 v119, v33, s15, v66 op_sel:[0,0,1] op_sel_hi:[1,0,0]
	v_mul_f16_e32 v114, 0x3bf1, v33
	v_pk_add_f16 v118, v119, v118
	v_pk_mul_f16 v119, v72, s21 op_sel_hi:[1,0]
	v_sub_f16_e32 v93, v93, v106
	v_pk_fma_f16 v120, v35, s12, v119 op_sel:[0,0,1] op_sel_hi:[1,0,0]
	v_sub_f16_e32 v92, v92, v114
	v_add_f16_sdwa v93, v14, v93 dst_sel:DWORD dst_unused:UNUSED_PAD src0_sel:WORD_1 src1_sel:DWORD
	v_pk_add_f16 v118, v120, v118
	v_pk_mul_f16 v120, v69, s18 op_sel_hi:[1,0]
	v_add_f16_e32 v92, v92, v93
	v_mul_f16_e32 v93, 0xba95, v35
	v_pk_fma_f16 v121, v39, s20, v120 op_sel:[0,0,1] op_sel_hi:[1,0,0]
	v_sub_f16_e32 v93, v94, v93
	v_pk_add_f16 v118, v121, v118
	v_pk_mul_f16 v121, v73, s19 op_sel_hi:[1,0]
	v_add_f16_e32 v92, v93, v92
	v_mul_f16_e32 v93, 0x33a8, v39
	v_pk_fma_f16 v122, v43, s11, v121 op_sel:[0,0,1] op_sel_hi:[1,0,0]
	v_sub_f16_e32 v93, v95, v93
	;; [unrolled: 6-line block ×3, first 2 shown]
	v_add_f16_e32 v82, v105, v82
	v_mul_f16_e32 v115, 0x2fb7, v72
	v_mul_f16_e32 v117, 0xbbc4, v72
	v_pk_add_f16 v118, v123, v118
	v_mul_f16_e32 v123, 0xb5ac, v72
	v_mul_f16_e32 v114, 0x3b15, v72
	;; [unrolled: 1-line block ×3, first 2 shown]
	v_add_f16_e32 v92, v93, v92
	v_mul_f16_e32 v93, 0xbb7b, v47
	v_add_f16_e32 v81, v113, v81
	v_add_f16_e32 v82, v14, v82
	v_mul_f16_e32 v94, 0xb5ac, v69
	v_mul_f16_e32 v96, 0xb9fd, v69
	v_sub_f16_e32 v93, v98, v93
	v_mul_f16_e32 v98, 0x3b15, v69
	v_mul_f16_e32 v105, 0x2fb7, v69
	;; [unrolled: 1-line block ×3, first 2 shown]
	v_add_f16_e32 v81, v81, v82
	v_add_f16_e32 v72, v72, v83
	v_add_f16_e32 v72, v72, v81
	v_add_f16_e32 v69, v69, v84
	v_add_f16_e32 v38, v101, v38
	v_mul_f16_e32 v113, 0xb9fd, v73
	v_mul_f16_e32 v83, 0x2fb7, v73
	;; [unrolled: 1-line block ×3, first 2 shown]
	v_add_f16_e32 v69, v69, v72
	v_mul_f16_e32 v72, 0xbbc4, v73
	v_mul_f16_e32 v73, 0x3b15, v73
	v_add_f16_e32 v48, v104, v48
	v_add_f16_e32 v42, v102, v42
	;; [unrolled: 1-line block ×4, first 2 shown]
	v_pk_add_f16 v15, v14, v15
	v_add_f16_e32 v73, v73, v85
	v_add_f16_e32 v48, v14, v48
	;; [unrolled: 1-line block ×7, first 2 shown]
	v_pk_add_f16 v15, v15, v20
	v_add_f16_e32 v69, v73, v69
	v_mul_f16_e32 v73, 0xb5ac, v74
	v_add_f16_e32 v48, v52, v48
	v_add_f16_e32 v52, v114, v57
	;; [unrolled: 1-line block ×6, first 2 shown]
	v_pk_add_f16 v15, v15, v21
	v_mul_f16_e32 v85, 0x3b15, v74
	v_add_f16_e32 v73, v73, v97
	v_add_f16_e32 v48, v52, v48
	;; [unrolled: 1-line block ×7, first 2 shown]
	v_pk_add_f16 v15, v15, v22
	v_mul_f16_e32 v100, 0xb770, v32
	v_mul_f16_e32 v97, 0xb9fd, v74
	v_add_f16_e32 v69, v73, v69
	v_pk_mul_f16 v73, v32, s23 op_sel_hi:[0,1]
	v_mul_f16_e32 v74, 0x388b, v74
	v_add_f16_e32 v48, v52, v48
	v_add_f16_e32 v52, v72, v64
	;; [unrolled: 1-line block ×6, first 2 shown]
	v_pk_add_f16 v15, v15, v23
	v_mul_f16_e32 v103, 0xbbf1, v32
	v_mul_f16_e32 v108, 0xba95, v33
	v_pk_add_f16 v73, v86, v73 neg_lo:[0,1] neg_hi:[0,1]
	v_pk_mul_f16 v86, v33, s24 op_sel_hi:[0,1]
	v_add_f16_e32 v48, v52, v48
	v_add_f16_e32 v52, v74, v71
	;; [unrolled: 1-line block ×5, first 2 shown]
	v_sub_f16_e32 v40, v61, v100
	v_add_f16_e32 v36, v99, v36
	v_pk_add_f16 v15, v15, v24
	v_mul_f16_e32 v111, 0xb3a8, v33
	v_mul_f16_e32 v116, 0xbbf1, v35
	v_pk_add_f16 v86, v87, v86 neg_lo:[0,1] neg_hi:[0,1]
	v_pk_mul_f16 v87, v35, s25 op_sel_hi:[0,1]
	v_add_f16_e32 v48, v52, v48
	v_sub_f16_e32 v52, v75, v103
	v_add_f16_e32 v42, v44, v42
	v_lshrrev_b32_e32 v44, 16, v73
	v_add_f16_sdwa v40, v14, v40 dst_sel:DWORD dst_unused:UNUSED_PAD src0_sel:WORD_1 src1_sel:DWORD
	v_sub_f16_e32 v46, v62, v108
	v_add_f16_e32 v36, v14, v36
	v_add_f16_e32 v37, v107, v37
	v_pk_add_f16 v15, v15, v25
	v_mul_f16_e32 v106, 0x3b7b, v35
	v_mul_f16_e32 v95, 0xbb7b, v39
	v_pk_add_f16 v87, v88, v87 neg_lo:[0,1] neg_hi:[0,1]
	v_pk_mul_f16 v88, v39, s26 op_sel_hi:[0,1]
	v_add_f16_sdwa v52, v14, v52 dst_sel:DWORD dst_unused:UNUSED_PAD src0_sel:WORD_1 src1_sel:DWORD
	v_sub_f16_e32 v57, v76, v111
	v_add_f16_sdwa v44, v14, v44 dst_sel:DWORD dst_unused:UNUSED_PAD src0_sel:WORD_1 src1_sel:DWORD
	v_add_f16_e32 v40, v46, v40
	v_sub_f16_e32 v46, v65, v116
	v_add_f16_e32 v36, v37, v36
	v_add_f16_e32 v37, v115, v41
	v_pk_add_f16 v15, v15, v18
	v_add_f16_e32 v92, v93, v92
	v_mul_f16_e32 v93, 0x3770, v39
	v_mul_f16_e32 v82, 0xb94e, v43
	v_pk_add_f16 v88, v89, v88 neg_lo:[0,1] neg_hi:[0,1]
	v_pk_mul_f16 v89, v43, s27 op_sel_hi:[0,1]
	v_add_f16_sdwa v104, v14, v73 dst_sel:DWORD dst_unused:UNUSED_PAD src0_sel:WORD_1 src1_sel:DWORD
	v_add_f16_e32 v52, v57, v52
	v_sub_f16_e32 v57, v77, v106
	v_add_f16_sdwa v44, v86, v44 dst_sel:DWORD dst_unused:UNUSED_PAD src0_sel:WORD_1 src1_sel:DWORD
	v_add_f16_e32 v40, v46, v40
	v_sub_f16_e32 v46, v68, v95
	v_add_f16_e32 v36, v37, v36
	v_add_f16_e32 v37, v94, v45
	v_pk_add_f16 v15, v15, v19
	v_mul_f16_e32 v84, 0xba95, v43
	v_pk_add_f16 v89, v90, v89 neg_lo:[0,1] neg_hi:[0,1]
	v_pk_mul_f16 v90, v47, s28 op_sel_hi:[0,1]
	v_add_f16_e32 v104, v86, v104
	v_add_f16_e32 v52, v57, v52
	v_sub_f16_e32 v57, v78, v93
	v_add_f16_sdwa v44, v87, v44 dst_sel:DWORD dst_unused:UNUSED_PAD src0_sel:WORD_1 src1_sel:DWORD
	v_add_f16_e32 v40, v46, v40
	v_sub_f16_e32 v46, v70, v82
	v_add_f16_e32 v36, v37, v36
	v_add_f16_e32 v37, v113, v50
	v_pk_add_f16 v15, v15, v16
	v_pk_add_f16 v90, v91, v90 neg_lo:[0,1] neg_hi:[0,1]
	v_mul_f16_e32 v91, 0xb94e, v47
	v_add_f16_e32 v104, v87, v104
	v_add_f16_e32 v52, v57, v52
	v_sub_f16_e32 v57, v79, v84
	v_add_f16_sdwa v44, v88, v44 dst_sel:DWORD dst_unused:UNUSED_PAD src0_sel:WORD_1 src1_sel:DWORD
	v_add_f16_e32 v40, v46, v40
	v_add_f16_e32 v36, v37, v36
	v_pk_add_f16 v15, v15, v17
	v_pk_add_f16 v17, v53, v54 op_sel:[0,1] op_sel_hi:[1,0]
	v_pk_add_f16 v18, v53, v54 op_sel:[0,1] op_sel_hi:[1,0] neg_lo:[0,1] neg_hi:[0,1]
	s_mov_b32 s16, 0xffff
	v_add_f16_e32 v104, v88, v104
	v_add_f16_e32 v52, v57, v52
	v_sub_f16_e32 v57, v80, v91
	v_add_f16_sdwa v44, v89, v44 dst_sel:DWORD dst_unused:UNUSED_PAD src0_sel:WORD_1 src1_sel:DWORD
	v_bfi_b32 v17, s16, v17, v18
	v_pack_b32_f16 v18, v36, v40
	v_add_f16_e32 v104, v89, v104
	v_add_f16_e32 v52, v57, v52
	v_add_f16_sdwa v44, v90, v44 dst_sel:DWORD dst_unused:UNUSED_PAD src0_sel:WORD_1 src1_sel:DWORD
	v_mad_u32_u24 v16, v6, 48, v26
	v_pk_add_f16 v17, v17, v18
	v_pk_add_f16 v15, v15, v34
	v_add_f16_e32 v104, v90, v104
	ds_write2_b32 v16, v15, v17 offset1:1
	v_pack_b32_f16 v15, v42, v52
	v_pack_b32_f16 v17, v38, v44
	ds_write2_b32 v16, v17, v15 offset0:2 offset1:3
	v_pack_b32_f16 v15, v69, v92
	v_pack_b32_f16 v17, v48, v104
	ds_write2_b32 v16, v17, v15 offset0:4 offset1:5
	v_pk_fma_f16 v15, v32, s13, v67 op_sel:[0,0,1] op_sel_hi:[1,0,0] neg_lo:[1,0,0] neg_hi:[1,0,0]
	s_nop 0
	v_pk_add_f16 v14, v14, v15 op_sel:[1,0] op_sel_hi:[0,1]
	v_pk_fma_f16 v15, v33, s15, v66 op_sel:[0,0,1] op_sel_hi:[1,0,0] neg_lo:[1,0,0] neg_hi:[1,0,0]
	s_nop 0
	v_pk_add_f16 v14, v15, v14
	v_pk_fma_f16 v15, v35, s12, v119 op_sel:[0,0,1] op_sel_hi:[1,0,0] neg_lo:[1,0,0] neg_hi:[1,0,0]
	s_nop 0
	v_pk_add_f16 v14, v15, v14
	;; [unrolled: 3-line block ×5, first 2 shown]
	s_nop 0
	v_alignbit_b32 v15, v118, v14, 16
	v_alignbit_b32 v14, v14, v118, 16
	ds_write2_b32 v16, v14, v15 offset0:6 offset1:7
	v_perm_b32 v14, v31, v13, s10
	v_perm_b32 v15, v30, v10, s10
	ds_write2_b32 v16, v14, v15 offset0:8 offset1:9
	v_bfi_b32 v14, s16, v0, v30
	v_perm_b32 v15, v28, v11, s10
	ds_write2_b32 v16, v15, v14 offset0:10 offset1:11
	v_perm_b32 v14, v27, v1, s10
	ds_write_b32 v16, v14 offset:48
.LBB0_21:
	s_or_b64 exec, exec, s[4:5]
	s_movk_i32 s4, 0x4f
	v_add_u32_e32 v20, 0xb6, v6
	v_mul_lo_u16_sdwa v32, v6, s4 dst_sel:DWORD dst_unused:UNUSED_PAD src0_sel:BYTE_0 src1_sel:DWORD
	s_movk_i32 s4, 0x4ec5
	v_mul_u32_u24_sdwa v21, v20, s4 dst_sel:DWORD dst_unused:UNUSED_PAD src0_sel:WORD_0 src1_sel:DWORD
	v_lshrrev_b16_e32 v17, 10, v32
	v_lshrrev_b32_e32 v33, 18, v21
	v_mul_lo_u16_e32 v14, 13, v17
	v_mul_lo_u16_e32 v18, 13, v33
	v_sub_u16_e32 v22, v6, v14
	v_mov_b32_e32 v14, 3
	v_sub_u16_e32 v37, v20, v18
	v_mul_u32_u24_sdwa v14, v22, v14 dst_sel:DWORD dst_unused:UNUSED_PAD src0_sel:BYTE_0 src1_sel:DWORD
	v_mul_u32_u24_e32 v18, 3, v37
	v_lshlrev_b32_e32 v14, 2, v14
	v_lshlrev_b32_e32 v18, 2, v18
	s_waitcnt lgkmcnt(0)
	s_barrier
	global_load_dwordx3 v[14:16], v14, s[8:9]
	v_add_u32_e32 v38, 0x500, v26
	global_load_dwordx3 v[34:36], v18, s[8:9]
	v_add_u32_e32 v40, 0xb00, v26
	ds_read2_b32 v[18:19], v26 offset1:182
	ds_read2_b32 v[24:25], v12 offset0:68 offset1:250
	ds_read2_b32 v[38:39], v38 offset0:44 offset1:226
	ds_read2_b32 v[40:41], v40 offset0:24 offset1:206
	v_mov_b32_e32 v23, 2
	s_mov_b32 s4, 0x7060302
	v_mul_u32_u24_e32 v12, 0xd0, v17
	v_mul_u32_u24_e32 v17, 0xd0, v33
	s_waitcnt lgkmcnt(2)
	v_lshrrev_b32_e32 v33, 16, v24
	v_lshlrev_b32_sdwa v22, v23, v22 dst_sel:DWORD dst_unused:UNUSED_PAD src0_sel:DWORD src1_sel:BYTE_0
	v_lshlrev_b32_e32 v37, 2, v37
	s_waitcnt lgkmcnt(1)
	v_lshrrev_b32_e32 v44, 16, v38
	s_waitcnt lgkmcnt(0)
	v_lshrrev_b32_e32 v45, 16, v40
	v_perm_b32 v47, v25, v39, s4
	v_add3_u32 v49, 0, v12, v22
	v_add3_u32 v17, 0, v17, v37
	v_lshrrev_b32_e32 v42, 16, v25
	v_lshrrev_b32_e32 v46, 16, v39
	v_perm_b32 v48, v25, v39, s10
	v_lshrrev_b32_e32 v43, 16, v18
	s_barrier
	v_cmp_gt_u32_e32 vcc, 26, v6
	s_waitcnt vmcnt(1)
	v_mul_f16_sdwa v12, v14, v44 dst_sel:DWORD dst_unused:UNUSED_PAD src0_sel:WORD_1 src1_sel:DWORD
	v_mul_f16_sdwa v22, v14, v38 dst_sel:DWORD dst_unused:UNUSED_PAD src0_sel:WORD_1 src1_sel:DWORD
	;; [unrolled: 1-line block ×5, first 2 shown]
	s_waitcnt vmcnt(0)
	v_alignbit_b32 v53, s0, v35, 16
	v_pk_mul_f16 v54, v35, v41 op_sel:[0,1] op_sel_hi:[1,0]
	v_perm_b32 v56, v36, v34, s4
	v_mul_f16_sdwa v50, v15, v40 dst_sel:DWORD dst_unused:UNUSED_PAD src0_sel:WORD_1 src1_sel:DWORD
	v_mul_f16_sdwa v39, v34, v39 dst_sel:DWORD dst_unused:UNUSED_PAD src0_sel:WORD_1 src1_sel:DWORD
	v_perm_b32 v55, v36, v34, s10
	v_mul_f16_sdwa v25, v36, v25 dst_sel:DWORD dst_unused:UNUSED_PAD src0_sel:WORD_1 src1_sel:DWORD
	v_fma_f16 v12, v14, v38, v12
	v_fma_f16 v14, v14, v44, -v22
	v_fma_f16 v22, v15, v40, v37
	v_fma_f16 v24, v16, v24, v51
	v_fma_f16 v16, v16, v33, -v52
	v_pk_mul_f16 v33, v53, v41 op_sel:[0,1] op_sel_hi:[1,0]
	v_alignbit_b32 v37, s0, v54, 16
	v_pk_mul_f16 v38, v56, v47
	v_fma_f16 v15, v15, v45, -v50
	v_fma_f16 v34, v34, v46, -v39
	;; [unrolled: 1-line block ×3, first 2 shown]
	v_pk_fma_f16 v33, v35, v41, v33 op_sel_hi:[1,0,1]
	v_pk_fma_f16 v35, v35, v41, v37 op_sel:[0,1,0] op_sel_hi:[1,0,1] neg_lo:[0,0,1] neg_hi:[0,0,1]
	v_pk_fma_f16 v36, v55, v48, v38
	v_sub_f16_e32 v22, v18, v22
	v_sub_f16_e32 v16, v14, v16
	;; [unrolled: 1-line block ×4, first 2 shown]
	v_fma_f16 v14, v14, 2.0, -v16
	v_add_f16_e32 v16, v22, v16
	v_pack_b32_f16 v33, v33, v35
	v_pack_b32_f16 v34, v36, v34
	v_alignbit_b32 v25, v25, v36, 16
	v_fma_f16 v18, v18, 2.0, -v22
	v_fma_f16 v37, v43, 2.0, -v15
	;; [unrolled: 1-line block ×4, first 2 shown]
	v_pk_add_f16 v33, v19, v33 neg_lo:[0,1] neg_hi:[0,1]
	v_pk_add_f16 v22, v34, v25 neg_lo:[0,1] neg_hi:[0,1]
	v_sub_f16_e32 v24, v15, v24
	v_sub_f16_e32 v35, v18, v12
	;; [unrolled: 1-line block ×3, first 2 shown]
	v_pk_fma_f16 v12, v19, 2.0, v33 op_sel_hi:[1,0,1] neg_lo:[0,0,1] neg_hi:[0,0,1]
	v_pk_fma_f16 v19, v34, 2.0, v22 op_sel_hi:[1,0,1] neg_lo:[0,0,1] neg_hi:[0,0,1]
	v_fma_f16 v15, v15, 2.0, -v24
	v_fma_f16 v18, v18, 2.0, -v35
	;; [unrolled: 1-line block ×3, first 2 shown]
	v_alignbit_b32 v34, s0, v22, 16
	v_pk_add_f16 v19, v12, v19 neg_lo:[0,1] neg_hi:[0,1]
	v_alignbit_b32 v38, s0, v33, 16
	v_pk_fma_f16 v37, v12, 2.0, v19 op_sel_hi:[1,0,1] neg_lo:[0,0,1] neg_hi:[0,0,1]
	v_pk_add_f16 v12, v33, v34
	v_lshrrev_b32_e32 v34, 16, v33
	v_pk_add_f16 v22, v38, v22 neg_lo:[0,1] neg_hi:[0,1]
	v_pack_b32_f16 v18, v18, v25
	v_pack_b32_f16 v15, v36, v15
	v_fma_f16 v33, v33, 2.0, -v12
	v_fma_f16 v34, v34, 2.0, -v22
	ds_write2_b32 v49, v18, v15 offset1:13
	v_pack_b32_f16 v14, v35, v14
	v_pack_b32_f16 v15, v16, v24
	ds_write2_b32 v49, v14, v15 offset0:26 offset1:39
	v_pack_b32_f16 v14, v33, v34
	ds_write2_b32 v17, v37, v14 offset1:13
	v_pack_b32_f16 v14, v12, v22
	v_add_u32_e32 v18, 0xd00, v26
	ds_write2_b32 v17, v19, v14 offset0:26 offset1:39
	s_waitcnt lgkmcnt(0)
	s_barrier
	ds_read2_b32 v[14:15], v26 offset1:208
	ds_read2_b32 v[16:17], v29 offset0:32 offset1:240
	ds_read2_b32 v[18:19], v18 offset1:208
	ds_read_b32 v29, v26 offset:4992
	s_mov_b32 s10, 0xffff
                                        ; implicit-def: $vgpr24
                                        ; implicit-def: $vgpr25
	s_and_saveexec_b64 s[4:5], vcc
	s_cbranch_execz .LBB0_23
; %bb.22:
	v_add_u32_e32 v0, 0x280, v26
	ds_read2_b32 v[12:13], v0 offset0:22 offset1:230
	v_add_u32_e32 v0, 0x900, v26
	ds_read2_b32 v[10:11], v0 offset0:22 offset1:230
	;; [unrolled: 2-line block ×3, first 2 shown]
	ds_read_b32 v25, v26 offset:5720
	ds_read_u16 v30, v26 offset:2394
	s_waitcnt lgkmcnt(4)
	v_lshrrev_b32_e32 v22, 16, v12
	v_lshrrev_b32_e32 v31, 16, v13
	s_waitcnt lgkmcnt(3)
	v_lshrrev_b32_e32 v28, 16, v11
	s_waitcnt lgkmcnt(2)
	;; [unrolled: 2-line block ×4, first 2 shown]
	v_bfi_b32 v30, s10, v30, v0
.LBB0_23:
	s_or_b64 exec, exec, s[4:5]
	v_lshrrev_b16_e32 v38, 12, v32
	v_mul_lo_u16_e32 v32, 52, v38
	v_sub_u16_e32 v39, v6, v32
	v_mov_b32_e32 v32, 6
	v_mul_u32_u24_sdwa v32, v39, v32 dst_sel:DWORD dst_unused:UNUSED_PAD src0_sel:BYTE_0 src1_sel:DWORD
	v_lshlrev_b32_e32 v40, 2, v32
	global_load_dwordx4 v[32:35], v40, s[8:9] offset:156
	global_load_dwordx2 v[36:37], v40, s[8:9] offset:172
	s_waitcnt lgkmcnt(3)
	v_lshrrev_b32_e32 v40, 16, v15
	s_waitcnt lgkmcnt(2)
	v_lshrrev_b32_e32 v41, 16, v16
	;; [unrolled: 2-line block ×4, first 2 shown]
	v_lshrrev_b32_e32 v42, 16, v17
	v_lshrrev_b32_e32 v43, 16, v18
	s_movk_i32 s13, 0x2b26
	s_mov_b32 s10, 0xbb00
	s_mov_b32 s12, 0xbcab
	s_movk_i32 s11, 0x39e0
	s_mov_b32 s14, 0xb9e0
	s_mov_b32 s16, 0xb574
	s_movk_i32 s17, 0x3574
	s_mov_b32 s15, 0xb70e
	v_lshlrev_b32_sdwa v23, v23, v39 dst_sel:DWORD dst_unused:UNUSED_PAD src0_sel:DWORD src1_sel:BYTE_0
	s_barrier
	s_waitcnt vmcnt(1)
	v_mul_f16_sdwa v46, v32, v40 dst_sel:DWORD dst_unused:UNUSED_PAD src0_sel:WORD_1 src1_sel:DWORD
	v_mul_f16_sdwa v47, v32, v15 dst_sel:DWORD dst_unused:UNUSED_PAD src0_sel:WORD_1 src1_sel:DWORD
	;; [unrolled: 1-line block ×4, first 2 shown]
	s_waitcnt vmcnt(0)
	v_mul_f16_sdwa v54, v36, v44 dst_sel:DWORD dst_unused:UNUSED_PAD src0_sel:WORD_1 src1_sel:DWORD
	v_mul_f16_sdwa v55, v36, v19 dst_sel:DWORD dst_unused:UNUSED_PAD src0_sel:WORD_1 src1_sel:DWORD
	;; [unrolled: 1-line block ×8, first 2 shown]
	v_fma_f16 v15, v32, v15, v46
	v_fma_f16 v32, v32, v40, -v47
	v_fma_f16 v16, v33, v16, v48
	v_fma_f16 v33, v33, v41, -v49
	;; [unrolled: 2-line block ×6, first 2 shown]
	v_add_f16_e32 v40, v15, v29
	v_add_f16_e32 v41, v32, v37
	v_sub_f16_e32 v15, v15, v29
	v_sub_f16_e32 v29, v32, v37
	v_add_f16_e32 v32, v16, v19
	v_add_f16_e32 v37, v33, v36
	v_sub_f16_e32 v16, v16, v19
	v_sub_f16_e32 v19, v33, v36
	;; [unrolled: 4-line block ×4, first 2 shown]
	v_sub_f16_e32 v40, v40, v33
	v_sub_f16_e32 v41, v41, v36
	;; [unrolled: 1-line block ×4, first 2 shown]
	v_add_f16_e32 v44, v17, v16
	v_add_f16_e32 v45, v18, v19
	v_sub_f16_e32 v46, v17, v16
	v_sub_f16_e32 v47, v18, v19
	;; [unrolled: 1-line block ×3, first 2 shown]
	v_add_f16_e32 v33, v33, v34
	v_add_f16_e32 v34, v36, v35
	v_sub_f16_e32 v17, v15, v17
	v_sub_f16_e32 v18, v29, v18
	;; [unrolled: 1-line block ×3, first 2 shown]
	v_add_f16_e32 v15, v44, v15
	v_add_f16_e32 v29, v45, v29
	v_mul_f16_e32 v35, 0x3a52, v40
	v_mul_f16_e32 v36, 0x3a52, v41
	;; [unrolled: 1-line block ×7, first 2 shown]
	v_add_f16_e32 v48, v33, v14
	v_add_f16_sdwa v14, v34, v14 dst_sel:DWORD dst_unused:UNUSED_PAD src0_sel:DWORD src1_sel:WORD_1
	v_mul_f16_e32 v47, 0xbb00, v19
	v_fma_f16 v32, v32, s13, v35
	v_fma_f16 v37, v37, s13, v36
	v_fma_f16 v40, v42, s11, -v40
	v_fma_f16 v41, v43, s11, -v41
	;; [unrolled: 1-line block ×3, first 2 shown]
	v_fma_f16 v33, v33, s12, v48
	v_fma_f16 v34, v34, s12, v14
	v_fma_f16 v36, v43, s14, -v36
	v_fma_f16 v42, v17, s16, v44
	v_fma_f16 v43, v18, s16, v45
	v_fma_f16 v16, v16, s10, -v44
	v_fma_f16 v17, v17, s17, -v46
	;; [unrolled: 1-line block ×4, first 2 shown]
	v_add_f16_e32 v32, v32, v33
	v_add_f16_e32 v37, v37, v34
	;; [unrolled: 1-line block ×6, first 2 shown]
	v_fma_f16 v35, v15, s15, v42
	v_fma_f16 v36, v29, s15, v43
	;; [unrolled: 1-line block ×6, first 2 shown]
	v_add_f16_e32 v18, v36, v32
	v_sub_f16_e32 v29, v37, v35
	v_sub_f16_e32 v43, v34, v15
	v_add_f16_e32 v15, v15, v34
	v_mul_u32_u24_e32 v34, 0x5b0, v38
	v_add_f16_e32 v42, v17, v33
	v_sub_f16_e32 v44, v40, v19
	v_add_f16_e32 v45, v16, v41
	v_add3_u32 v23, 0, v34, v23
	v_pack_b32_f16 v14, v48, v14
	v_pack_b32_f16 v18, v18, v29
	v_add_f16_e32 v19, v19, v40
	v_sub_f16_e32 v16, v41, v16
	v_sub_f16_e32 v17, v33, v17
	ds_write2_b32 v23, v14, v18 offset1:52
	v_pack_b32_f16 v14, v42, v43
	v_pack_b32_f16 v18, v44, v45
	v_sub_f16_e32 v32, v32, v36
	v_add_f16_e32 v33, v35, v37
	ds_write2_b32 v23, v14, v18 offset0:104 offset1:156
	v_pack_b32_f16 v14, v19, v16
	v_pack_b32_f16 v15, v17, v15
	v_add_u32_e32 v16, 0x200, v23
	ds_write2_b32 v16, v14, v15 offset0:80 offset1:132
	v_pack_b32_f16 v14, v32, v33
	ds_write_b32 v23, v14 offset:1248
	s_and_saveexec_b64 s[4:5], vcc
	s_cbranch_execz .LBB0_25
; %bb.24:
	v_lshrrev_b32_e32 v14, 20, v21
	v_mul_lo_u16_e32 v14, 52, v14
	v_sub_u16_e32 v20, v20, v14
	v_mul_u32_u24_e32 v14, 6, v20
	v_lshlrev_b32_e32 v21, 2, v14
	global_load_dwordx4 v[14:17], v21, s[8:9] offset:156
	global_load_dwordx2 v[18:19], v21, s[8:9] offset:172
	v_lshrrev_b32_e32 v21, 16, v30
	s_waitcnt vmcnt(1)
	v_mul_f16_sdwa v23, v31, v14 dst_sel:DWORD dst_unused:UNUSED_PAD src0_sel:DWORD src1_sel:WORD_1
	s_waitcnt vmcnt(0)
	v_mul_f16_sdwa v29, v24, v19 dst_sel:DWORD dst_unused:UNUSED_PAD src0_sel:DWORD src1_sel:WORD_1
	v_mul_f16_sdwa v32, v21, v17 dst_sel:DWORD dst_unused:UNUSED_PAD src0_sel:DWORD src1_sel:WORD_1
	;; [unrolled: 1-line block ×11, first 2 shown]
	v_fma_f16 v13, v13, v14, v23
	v_fma_f16 v23, v25, v19, v29
	;; [unrolled: 1-line block ×6, first 2 shown]
	v_fma_f16 v19, v24, v19, -v36
	v_fma_f16 v14, v31, v14, -v37
	;; [unrolled: 1-line block ×6, first 2 shown]
	v_sub_f16_e32 v21, v13, v23
	v_sub_f16_e32 v24, v0, v11
	;; [unrolled: 1-line block ×3, first 2 shown]
	v_add_f16_e32 v27, v14, v19
	v_add_f16_e32 v29, v15, v18
	;; [unrolled: 1-line block ×6, first 2 shown]
	v_sub_f16_e32 v10, v14, v19
	v_sub_f16_e32 v11, v17, v16
	;; [unrolled: 1-line block ×4, first 2 shown]
	v_add_f16_e32 v17, v24, v25
	v_add_f16_e32 v23, v29, v27
	;; [unrolled: 1-line block ×3, first 2 shown]
	v_sub_f16_e32 v15, v21, v24
	v_sub_f16_e32 v18, v27, v28
	;; [unrolled: 1-line block ×7, first 2 shown]
	v_add_f16_e32 v11, v11, v14
	v_sub_f16_e32 v25, v25, v21
	v_sub_f16_e32 v1, v1, v13
	;; [unrolled: 1-line block ×3, first 2 shown]
	v_mul_f16_e32 v14, 0x3846, v16
	v_add_f16_e32 v16, v17, v21
	v_add_f16_e32 v21, v28, v23
	;; [unrolled: 1-line block ×3, first 2 shown]
	v_sub_f16_e32 v27, v29, v27
	v_mul_f16_e32 v17, 0x3a52, v18
	v_mul_f16_e32 v18, 0x2b26, v19
	;; [unrolled: 1-line block ×5, first 2 shown]
	v_add_f16_e32 v10, v11, v10
	v_mul_f16_e32 v11, 0xbb00, v25
	v_mul_f16_e32 v29, 0xbb00, v13
	v_add_f16_e32 v22, v22, v21
	v_add_f16_e32 v12, v12, v0
	v_fma_f16 v31, v15, s16, v14
	v_fma_f16 v19, v19, s13, v17
	;; [unrolled: 1-line block ×4, first 2 shown]
	v_fma_f16 v11, v15, s17, -v11
	v_fma_f16 v15, v27, s14, -v17
	;; [unrolled: 1-line block ×4, first 2 shown]
	v_fma_f16 v21, v21, s12, v22
	v_fma_f16 v0, v0, s12, v12
	v_fma_f16 v18, v27, s11, -v18
	v_fma_f16 v14, v25, s10, -v14
	;; [unrolled: 1-line block ×4, first 2 shown]
	v_fma_f16 v29, v16, s15, v31
	v_fma_f16 v31, v10, s15, v33
	;; [unrolled: 1-line block ×3, first 2 shown]
	v_add_f16_e32 v19, v19, v21
	v_add_f16_e32 v30, v30, v0
	v_add_f16_e32 v15, v15, v21
	v_add_f16_e32 v17, v17, v0
	v_fma_f16 v23, v10, s15, v23
	v_add_f16_e32 v18, v18, v21
	v_fma_f16 v14, v16, s15, v14
	v_fma_f16 v10, v10, s15, v13
	v_add_f16_e32 v0, v1, v0
	v_add_f16_e32 v34, v11, v15
	v_sub_f16_e32 v35, v17, v23
	v_sub_f16_e32 v16, v18, v14
	v_add_f16_e32 v1, v10, v0
	v_add_f16_e32 v13, v14, v18
	v_sub_f16_e32 v0, v0, v10
	v_sub_f16_e32 v10, v15, v11
	v_add_f16_e32 v11, v23, v17
	v_sub_f16_e32 v14, v19, v29
	v_add_f16_e32 v15, v31, v30
	v_lshl_add_u32 v17, v20, 2, 0
	v_pack_b32_f16 v14, v15, v14
	v_add_u32_e32 v15, 0x1000, v17
	v_pack_b32_f16 v10, v11, v10
	v_pack_b32_f16 v0, v0, v13
	v_add_f16_e32 v32, v29, v19
	v_sub_f16_e32 v33, v30, v31
	ds_write2_b32 v15, v10, v0 offset0:172 offset1:224
	v_pack_b32_f16 v0, v1, v16
	v_pack_b32_f16 v1, v35, v34
	v_add_u32_e32 v10, 0x1400, v17
	v_pack_b32_f16 v12, v12, v22
	ds_write2_b32 v10, v0, v1 offset0:20 offset1:72
	v_pack_b32_f16 v0, v33, v32
	ds_write2_b32 v15, v12, v14 offset0:68 offset1:120
	ds_write_b32 v17, v0 offset:5616
.LBB0_25:
	s_or_b64 exec, exec, s[4:5]
	v_lshl_add_u64 v[0:1], v[8:9], 2, s[8:9]
	s_waitcnt lgkmcnt(0)
	s_barrier
	v_lshl_add_u64 v[8:9], v[6:7], 2, s[8:9]
	global_load_dword v7, v[0:1], off offset:1404
	global_load_dword v20, v[8:9], off offset:2132
	v_add_u32_e32 v21, 0xb00, v26
	ds_read2_b32 v[10:11], v26 offset1:182
	v_add_u32_e32 v22, 0x500, v26
	v_add_u32_e32 v23, 0x1000, v26
	ds_read2_b32 v[12:13], v21 offset0:24 offset1:206
	ds_read2_b32 v[14:15], v22 offset0:44 offset1:226
	;; [unrolled: 1-line block ×3, first 2 shown]
	s_mov_b32 s5, 0xffff
	s_movk_i32 s4, 0x1000
	v_add_co_u32_e32 v18, vcc, s4, v8
	s_waitcnt lgkmcnt(0)
	s_barrier
	v_addc_co_u32_e32 v19, vcc, 0, v9, vcc
	s_waitcnt vmcnt(1)
	v_pk_mul_f16 v24, v7, v12 op_sel:[0,1]
	s_waitcnt vmcnt(0)
	v_pk_mul_f16 v25, v20, v13 op_sel:[0,1]
	v_pk_mul_f16 v27, v7, v16 op_sel:[0,1]
	;; [unrolled: 1-line block ×3, first 2 shown]
	v_pk_fma_f16 v29, v7, v12, v24 op_sel:[0,0,1] op_sel_hi:[1,1,0]
	v_pk_fma_f16 v12, v7, v12, v24 op_sel:[0,0,1] op_sel_hi:[1,0,0] neg_lo:[1,0,0] neg_hi:[1,0,0]
	v_pk_fma_f16 v24, v20, v13, v25 op_sel:[0,0,1] op_sel_hi:[1,1,0]
	v_pk_fma_f16 v13, v20, v13, v25 op_sel:[0,0,1] op_sel_hi:[1,0,0] neg_lo:[1,0,0] neg_hi:[1,0,0]
	v_pk_fma_f16 v25, v7, v16, v27 op_sel:[0,0,1] op_sel_hi:[1,1,0]
	v_pk_fma_f16 v7, v7, v16, v27 op_sel:[0,0,1] op_sel_hi:[1,0,0] neg_lo:[1,0,0] neg_hi:[1,0,0]
	v_pk_fma_f16 v16, v20, v17, v28 op_sel:[0,0,1] op_sel_hi:[1,1,0]
	v_pk_fma_f16 v17, v20, v17, v28 op_sel:[0,0,1] op_sel_hi:[1,0,0] neg_lo:[1,0,0] neg_hi:[1,0,0]
	v_bfi_b32 v7, s5, v25, v7
	v_bfi_b32 v16, s5, v16, v17
	;; [unrolled: 1-line block ×4, first 2 shown]
	v_pk_add_f16 v7, v14, v7 neg_lo:[0,1] neg_hi:[0,1]
	v_pk_add_f16 v16, v15, v16 neg_lo:[0,1] neg_hi:[0,1]
	;; [unrolled: 1-line block ×4, first 2 shown]
	v_pk_fma_f16 v14, v14, 2.0, v7 op_sel_hi:[1,0,1] neg_lo:[0,0,1] neg_hi:[0,0,1]
	v_pk_fma_f16 v15, v15, 2.0, v16 op_sel_hi:[1,0,1] neg_lo:[0,0,1] neg_hi:[0,0,1]
	;; [unrolled: 1-line block ×4, first 2 shown]
	ds_write2_b32 v22, v12, v13 offset0:44 offset1:226
	ds_write2_b32 v23, v7, v16 offset0:68 offset1:250
	ds_write2_b32 v26, v10, v11 offset1:182
	ds_write2_b32 v21, v14, v15 offset0:24 offset1:206
	s_waitcnt lgkmcnt(0)
	s_barrier
	global_load_dword v7, v[0:1], off offset:2860
	global_load_dword v14, v[8:9], off offset:3588
	;; [unrolled: 1-line block ×4, first 2 shown]
	ds_read2_b32 v[0:1], v26 offset1:182
	ds_read2_b32 v[8:9], v21 offset0:24 offset1:206
	ds_read2_b32 v[10:11], v22 offset0:44 offset1:226
	;; [unrolled: 1-line block ×3, first 2 shown]
	s_waitcnt lgkmcnt(0)
	s_barrier
	s_waitcnt vmcnt(3)
	v_pk_mul_f16 v17, v7, v8 op_sel:[0,1]
	s_waitcnt vmcnt(2)
	v_pk_mul_f16 v18, v14, v9 op_sel:[0,1]
	;; [unrolled: 2-line block ×4, first 2 shown]
	v_pk_fma_f16 v24, v7, v8, v17 op_sel:[0,0,1] op_sel_hi:[1,1,0]
	v_pk_fma_f16 v7, v7, v8, v17 op_sel:[0,0,1] op_sel_hi:[1,0,0] neg_lo:[1,0,0] neg_hi:[1,0,0]
	v_pk_fma_f16 v8, v14, v9, v18 op_sel:[0,0,1] op_sel_hi:[1,1,0]
	v_pk_fma_f16 v9, v14, v9, v18 op_sel:[0,0,1] op_sel_hi:[1,0,0] neg_lo:[1,0,0] neg_hi:[1,0,0]
	v_pk_fma_f16 v14, v15, v12, v19 op_sel:[0,0,1] op_sel_hi:[1,1,0]
	v_pk_fma_f16 v12, v15, v12, v19 op_sel:[0,0,1] op_sel_hi:[1,0,0] neg_lo:[1,0,0] neg_hi:[1,0,0]
	v_pk_fma_f16 v15, v16, v13, v20 op_sel:[0,0,1] op_sel_hi:[1,1,0]
	v_pk_fma_f16 v13, v16, v13, v20 op_sel:[0,0,1] op_sel_hi:[1,0,0] neg_lo:[1,0,0] neg_hi:[1,0,0]
	v_bfi_b32 v7, s5, v24, v7
	v_bfi_b32 v8, s5, v8, v9
	;; [unrolled: 1-line block ×4, first 2 shown]
	v_pk_add_f16 v7, v0, v7 neg_lo:[0,1] neg_hi:[0,1]
	v_pk_add_f16 v8, v1, v8 neg_lo:[0,1] neg_hi:[0,1]
	;; [unrolled: 1-line block ×4, first 2 shown]
	v_pk_fma_f16 v0, v0, 2.0, v7 op_sel_hi:[1,0,1] neg_lo:[0,0,1] neg_hi:[0,0,1]
	v_pk_fma_f16 v1, v1, 2.0, v8 op_sel_hi:[1,0,1] neg_lo:[0,0,1] neg_hi:[0,0,1]
	v_pk_fma_f16 v10, v10, 2.0, v9 op_sel_hi:[1,0,1] neg_lo:[0,0,1] neg_hi:[0,0,1]
	v_pk_fma_f16 v11, v11, 2.0, v12 op_sel_hi:[1,0,1] neg_lo:[0,0,1] neg_hi:[0,0,1]
	ds_write2_b32 v21, v7, v8 offset0:24 offset1:206
	ds_write2_b32 v23, v9, v12 offset0:68 offset1:250
	ds_write2_b32 v26, v0, v1 offset1:182
	ds_write2_b32 v22, v10, v11 offset0:44 offset1:226
	s_waitcnt lgkmcnt(0)
	s_barrier
	s_and_saveexec_b64 s[4:5], s[0:1]
	s_cbranch_execz .LBB0_27
; %bb.26:
	v_mul_lo_u32 v7, s3, v4
	v_mul_lo_u32 v5, s2, v5
	v_mad_u64_u32 v[0:1], s[0:1], s2, v4, 0
	v_lshl_add_u32 v10, v6, 2, 0
	v_add3_u32 v1, v1, v5, v7
	ds_read2_b32 v[4:5], v10 offset1:182
	v_lshl_add_u64 v[0:1], v[0:1], 2, s[6:7]
	v_mov_b32_e32 v7, 0
	v_lshl_add_u64 v[0:1], v[2:3], 2, v[0:1]
	v_lshl_add_u64 v[2:3], v[6:7], 2, v[0:1]
	s_waitcnt lgkmcnt(0)
	global_store_dword v[2:3], v4, off
	v_add_u32_e32 v4, 0x500, v10
	ds_read2_b32 v[8:9], v4 offset0:44 offset1:226
	v_add_u32_e32 v2, 0xb6, v6
	v_mov_b32_e32 v3, v7
	v_lshl_add_u64 v[2:3], v[2:3], 2, v[0:1]
	global_store_dword v[2:3], v5, off
	v_add_u32_e32 v2, 0x16c, v6
	v_mov_b32_e32 v3, v7
	v_add_u32_e32 v4, 0xb00, v10
	v_lshl_add_u64 v[2:3], v[2:3], 2, v[0:1]
	ds_read2_b32 v[4:5], v4 offset0:24 offset1:206
	s_waitcnt lgkmcnt(1)
	global_store_dword v[2:3], v8, off
	v_add_u32_e32 v2, 0x222, v6
	v_mov_b32_e32 v3, v7
	v_lshl_add_u64 v[2:3], v[2:3], 2, v[0:1]
	global_store_dword v[2:3], v9, off
	v_add_u32_e32 v2, 0x2d8, v6
	v_mov_b32_e32 v3, v7
	v_lshl_add_u64 v[2:3], v[2:3], 2, v[0:1]
	s_waitcnt lgkmcnt(0)
	global_store_dword v[2:3], v4, off
	v_add_u32_e32 v4, 0x1000, v10
	ds_read2_b32 v[8:9], v4 offset0:68 offset1:250
	v_add_u32_e32 v2, 0x38e, v6
	v_mov_b32_e32 v3, v7
	v_lshl_add_u64 v[2:3], v[2:3], 2, v[0:1]
	global_store_dword v[2:3], v5, off
	v_add_u32_e32 v2, 0x444, v6
	v_mov_b32_e32 v3, v7
	v_add_u32_e32 v6, 0x4fa, v6
	v_lshl_add_u64 v[2:3], v[2:3], 2, v[0:1]
	v_lshl_add_u64 v[0:1], v[6:7], 2, v[0:1]
	s_waitcnt lgkmcnt(0)
	global_store_dword v[2:3], v8, off
	global_store_dword v[0:1], v9, off
.LBB0_27:
	s_endpgm
	.section	.rodata,"a",@progbits
	.p2align	6, 0x0
	.amdhsa_kernel fft_rtc_back_len1456_factors_13_4_7_2_2_wgs_182_tpt_182_halfLds_half_op_CI_CI_unitstride_sbrr_C2R_dirReg
		.amdhsa_group_segment_fixed_size 0
		.amdhsa_private_segment_fixed_size 0
		.amdhsa_kernarg_size 104
		.amdhsa_user_sgpr_count 2
		.amdhsa_user_sgpr_dispatch_ptr 0
		.amdhsa_user_sgpr_queue_ptr 0
		.amdhsa_user_sgpr_kernarg_segment_ptr 1
		.amdhsa_user_sgpr_dispatch_id 0
		.amdhsa_user_sgpr_kernarg_preload_length 0
		.amdhsa_user_sgpr_kernarg_preload_offset 0
		.amdhsa_user_sgpr_private_segment_size 0
		.amdhsa_uses_dynamic_stack 0
		.amdhsa_enable_private_segment 0
		.amdhsa_system_sgpr_workgroup_id_x 1
		.amdhsa_system_sgpr_workgroup_id_y 0
		.amdhsa_system_sgpr_workgroup_id_z 0
		.amdhsa_system_sgpr_workgroup_info 0
		.amdhsa_system_vgpr_workitem_id 0
		.amdhsa_next_free_vgpr 124
		.amdhsa_next_free_sgpr 29
		.amdhsa_accum_offset 124
		.amdhsa_reserve_vcc 1
		.amdhsa_float_round_mode_32 0
		.amdhsa_float_round_mode_16_64 0
		.amdhsa_float_denorm_mode_32 3
		.amdhsa_float_denorm_mode_16_64 3
		.amdhsa_dx10_clamp 1
		.amdhsa_ieee_mode 1
		.amdhsa_fp16_overflow 0
		.amdhsa_tg_split 0
		.amdhsa_exception_fp_ieee_invalid_op 0
		.amdhsa_exception_fp_denorm_src 0
		.amdhsa_exception_fp_ieee_div_zero 0
		.amdhsa_exception_fp_ieee_overflow 0
		.amdhsa_exception_fp_ieee_underflow 0
		.amdhsa_exception_fp_ieee_inexact 0
		.amdhsa_exception_int_div_zero 0
	.end_amdhsa_kernel
	.text
.Lfunc_end0:
	.size	fft_rtc_back_len1456_factors_13_4_7_2_2_wgs_182_tpt_182_halfLds_half_op_CI_CI_unitstride_sbrr_C2R_dirReg, .Lfunc_end0-fft_rtc_back_len1456_factors_13_4_7_2_2_wgs_182_tpt_182_halfLds_half_op_CI_CI_unitstride_sbrr_C2R_dirReg
                                        ; -- End function
	.section	.AMDGPU.csdata,"",@progbits
; Kernel info:
; codeLenInByte = 9116
; NumSgprs: 35
; NumVgprs: 124
; NumAgprs: 0
; TotalNumVgprs: 124
; ScratchSize: 0
; MemoryBound: 0
; FloatMode: 240
; IeeeMode: 1
; LDSByteSize: 0 bytes/workgroup (compile time only)
; SGPRBlocks: 4
; VGPRBlocks: 15
; NumSGPRsForWavesPerEU: 35
; NumVGPRsForWavesPerEU: 124
; AccumOffset: 124
; Occupancy: 4
; WaveLimiterHint : 1
; COMPUTE_PGM_RSRC2:SCRATCH_EN: 0
; COMPUTE_PGM_RSRC2:USER_SGPR: 2
; COMPUTE_PGM_RSRC2:TRAP_HANDLER: 0
; COMPUTE_PGM_RSRC2:TGID_X_EN: 1
; COMPUTE_PGM_RSRC2:TGID_Y_EN: 0
; COMPUTE_PGM_RSRC2:TGID_Z_EN: 0
; COMPUTE_PGM_RSRC2:TIDIG_COMP_CNT: 0
; COMPUTE_PGM_RSRC3_GFX90A:ACCUM_OFFSET: 30
; COMPUTE_PGM_RSRC3_GFX90A:TG_SPLIT: 0
	.text
	.p2alignl 6, 3212836864
	.fill 256, 4, 3212836864
	.type	__hip_cuid_4693a7823312d14d,@object ; @__hip_cuid_4693a7823312d14d
	.section	.bss,"aw",@nobits
	.globl	__hip_cuid_4693a7823312d14d
__hip_cuid_4693a7823312d14d:
	.byte	0                               ; 0x0
	.size	__hip_cuid_4693a7823312d14d, 1

	.ident	"AMD clang version 19.0.0git (https://github.com/RadeonOpenCompute/llvm-project roc-6.4.0 25133 c7fe45cf4b819c5991fe208aaa96edf142730f1d)"
	.section	".note.GNU-stack","",@progbits
	.addrsig
	.addrsig_sym __hip_cuid_4693a7823312d14d
	.amdgpu_metadata
---
amdhsa.kernels:
  - .agpr_count:     0
    .args:
      - .actual_access:  read_only
        .address_space:  global
        .offset:         0
        .size:           8
        .value_kind:     global_buffer
      - .offset:         8
        .size:           8
        .value_kind:     by_value
      - .actual_access:  read_only
        .address_space:  global
        .offset:         16
        .size:           8
        .value_kind:     global_buffer
      - .actual_access:  read_only
        .address_space:  global
        .offset:         24
        .size:           8
        .value_kind:     global_buffer
      - .actual_access:  read_only
        .address_space:  global
        .offset:         32
        .size:           8
        .value_kind:     global_buffer
      - .offset:         40
        .size:           8
        .value_kind:     by_value
      - .actual_access:  read_only
        .address_space:  global
        .offset:         48
        .size:           8
        .value_kind:     global_buffer
      - .actual_access:  read_only
        .address_space:  global
        .offset:         56
        .size:           8
        .value_kind:     global_buffer
      - .offset:         64
        .size:           4
        .value_kind:     by_value
      - .actual_access:  read_only
        .address_space:  global
        .offset:         72
        .size:           8
        .value_kind:     global_buffer
      - .actual_access:  read_only
        .address_space:  global
        .offset:         80
        .size:           8
        .value_kind:     global_buffer
      - .actual_access:  read_only
        .address_space:  global
        .offset:         88
        .size:           8
        .value_kind:     global_buffer
      - .actual_access:  write_only
        .address_space:  global
        .offset:         96
        .size:           8
        .value_kind:     global_buffer
    .group_segment_fixed_size: 0
    .kernarg_segment_align: 8
    .kernarg_segment_size: 104
    .language:       OpenCL C
    .language_version:
      - 2
      - 0
    .max_flat_workgroup_size: 182
    .name:           fft_rtc_back_len1456_factors_13_4_7_2_2_wgs_182_tpt_182_halfLds_half_op_CI_CI_unitstride_sbrr_C2R_dirReg
    .private_segment_fixed_size: 0
    .sgpr_count:     35
    .sgpr_spill_count: 0
    .symbol:         fft_rtc_back_len1456_factors_13_4_7_2_2_wgs_182_tpt_182_halfLds_half_op_CI_CI_unitstride_sbrr_C2R_dirReg.kd
    .uniform_work_group_size: 1
    .uses_dynamic_stack: false
    .vgpr_count:     124
    .vgpr_spill_count: 0
    .wavefront_size: 64
amdhsa.target:   amdgcn-amd-amdhsa--gfx950
amdhsa.version:
  - 1
  - 2
...

	.end_amdgpu_metadata
